;; amdgpu-corpus repo=zjin-lcf/HeCBench kind=compiled arch=gfx1030 opt=O3
	.amdgcn_target "amdgcn-amd-amdhsa--gfx1030"
	.amdhsa_code_object_version 6
	.text
	.protected	_Z16atomic_reductionPiS_i ; -- Begin function _Z16atomic_reductionPiS_i
	.globl	_Z16atomic_reductionPiS_i
	.p2align	8
	.type	_Z16atomic_reductionPiS_i,@function
_Z16atomic_reductionPiS_i:              ; @_Z16atomic_reductionPiS_i
; %bb.0:
	s_clause 0x2
	s_load_dword s8, s[4:5], 0x24
	s_load_dword s7, s[4:5], 0x10
	s_load_dwordx4 s[0:3], s[4:5], 0x0
	s_add_u32 s4, s4, 24
	s_addc_u32 s5, s5, 0
	v_mov_b32_e32 v2, 0
	s_waitcnt lgkmcnt(0)
	s_and_b32 s8, s8, 0xffff
	v_mad_u64_u32 v[0:1], null, s6, s8, v[0:1]
	s_mov_b32 s6, exec_lo
	v_cmpx_gt_i32_e64 s7, v0
	s_cbranch_execz .LBB0_4
; %bb.1:
	s_load_dword s5, s[4:5], 0x0
	v_mov_b32_e32 v2, 0
	s_mov_b32 s4, 0
	s_waitcnt lgkmcnt(0)
	s_mul_i32 s5, s5, s8
.LBB0_2:                                ; =>This Inner Loop Header: Depth=1
	v_ashrrev_i32_e32 v1, 31, v0
	v_lshlrev_b64 v[3:4], 2, v[0:1]
	v_add_nc_u32_e32 v0, s5, v0
	v_add_co_u32 v3, vcc_lo, s0, v3
	v_add_co_ci_u32_e64 v4, null, s1, v4, vcc_lo
	v_cmp_le_i32_e32 vcc_lo, s7, v0
	global_load_dword v1, v[3:4], off
	s_or_b32 s4, vcc_lo, s4
	s_waitcnt vmcnt(0)
	v_add_nc_u32_e32 v2, v1, v2
	s_andn2_b32 exec_lo, exec_lo, s4
	s_cbranch_execnz .LBB0_2
; %bb.3:
	s_or_b32 exec_lo, exec_lo, s4
.LBB0_4:
	s_or_b32 exec_lo, exec_lo, s6
	s_mov_b32 s1, exec_lo
	s_mov_b32 s0, 0
.LBB0_5:                                ; =>This Inner Loop Header: Depth=1
	s_ff1_i32_b32 s4, s1
	v_readlane_b32 s5, v2, s4
	s_lshl_b32 s4, 1, s4
	s_andn2_b32 s1, s1, s4
	s_add_i32 s0, s0, s5
	s_cmp_lg_u32 s1, 0
	s_cbranch_scc1 .LBB0_5
; %bb.6:
	v_mbcnt_lo_u32_b32 v0, exec_lo, 0
	s_mov_b32 s1, exec_lo
	v_cmpx_eq_u32_e32 0, v0
	s_xor_b32 s1, exec_lo, s1
	s_cbranch_execz .LBB0_8
; %bb.7:
	v_mov_b32_e32 v0, 0
	v_mov_b32_e32 v1, s0
	global_atomic_add v0, v1, s[2:3]
.LBB0_8:
	s_endpgm
	.section	.rodata,"a",@progbits
	.p2align	6, 0x0
	.amdhsa_kernel _Z16atomic_reductionPiS_i
		.amdhsa_group_segment_fixed_size 0
		.amdhsa_private_segment_fixed_size 0
		.amdhsa_kernarg_size 280
		.amdhsa_user_sgpr_count 6
		.amdhsa_user_sgpr_private_segment_buffer 1
		.amdhsa_user_sgpr_dispatch_ptr 0
		.amdhsa_user_sgpr_queue_ptr 0
		.amdhsa_user_sgpr_kernarg_segment_ptr 1
		.amdhsa_user_sgpr_dispatch_id 0
		.amdhsa_user_sgpr_flat_scratch_init 0
		.amdhsa_user_sgpr_private_segment_size 0
		.amdhsa_wavefront_size32 1
		.amdhsa_uses_dynamic_stack 0
		.amdhsa_system_sgpr_private_segment_wavefront_offset 0
		.amdhsa_system_sgpr_workgroup_id_x 1
		.amdhsa_system_sgpr_workgroup_id_y 0
		.amdhsa_system_sgpr_workgroup_id_z 0
		.amdhsa_system_sgpr_workgroup_info 0
		.amdhsa_system_vgpr_workitem_id 0
		.amdhsa_next_free_vgpr 5
		.amdhsa_next_free_sgpr 9
		.amdhsa_reserve_vcc 1
		.amdhsa_reserve_flat_scratch 0
		.amdhsa_float_round_mode_32 0
		.amdhsa_float_round_mode_16_64 0
		.amdhsa_float_denorm_mode_32 3
		.amdhsa_float_denorm_mode_16_64 3
		.amdhsa_dx10_clamp 1
		.amdhsa_ieee_mode 1
		.amdhsa_fp16_overflow 0
		.amdhsa_workgroup_processor_mode 1
		.amdhsa_memory_ordered 1
		.amdhsa_forward_progress 1
		.amdhsa_shared_vgpr_count 0
		.amdhsa_exception_fp_ieee_invalid_op 0
		.amdhsa_exception_fp_denorm_src 0
		.amdhsa_exception_fp_ieee_div_zero 0
		.amdhsa_exception_fp_ieee_overflow 0
		.amdhsa_exception_fp_ieee_underflow 0
		.amdhsa_exception_fp_ieee_inexact 0
		.amdhsa_exception_int_div_zero 0
	.end_amdhsa_kernel
	.text
.Lfunc_end0:
	.size	_Z16atomic_reductionPiS_i, .Lfunc_end0-_Z16atomic_reductionPiS_i
                                        ; -- End function
	.set _Z16atomic_reductionPiS_i.num_vgpr, 5
	.set _Z16atomic_reductionPiS_i.num_agpr, 0
	.set _Z16atomic_reductionPiS_i.numbered_sgpr, 9
	.set _Z16atomic_reductionPiS_i.num_named_barrier, 0
	.set _Z16atomic_reductionPiS_i.private_seg_size, 0
	.set _Z16atomic_reductionPiS_i.uses_vcc, 1
	.set _Z16atomic_reductionPiS_i.uses_flat_scratch, 0
	.set _Z16atomic_reductionPiS_i.has_dyn_sized_stack, 0
	.set _Z16atomic_reductionPiS_i.has_recursion, 0
	.set _Z16atomic_reductionPiS_i.has_indirect_call, 0
	.section	.AMDGPU.csdata,"",@progbits
; Kernel info:
; codeLenInByte = 256
; TotalNumSgprs: 11
; NumVgprs: 5
; ScratchSize: 0
; MemoryBound: 0
; FloatMode: 240
; IeeeMode: 1
; LDSByteSize: 0 bytes/workgroup (compile time only)
; SGPRBlocks: 0
; VGPRBlocks: 0
; NumSGPRsForWavesPerEU: 11
; NumVGPRsForWavesPerEU: 5
; Occupancy: 16
; WaveLimiterHint : 0
; COMPUTE_PGM_RSRC2:SCRATCH_EN: 0
; COMPUTE_PGM_RSRC2:USER_SGPR: 6
; COMPUTE_PGM_RSRC2:TRAP_HANDLER: 0
; COMPUTE_PGM_RSRC2:TGID_X_EN: 1
; COMPUTE_PGM_RSRC2:TGID_Y_EN: 0
; COMPUTE_PGM_RSRC2:TGID_Z_EN: 0
; COMPUTE_PGM_RSRC2:TIDIG_COMP_CNT: 0
	.text
	.protected	_Z19atomic_reduction_v2PiS_i ; -- Begin function _Z19atomic_reduction_v2PiS_i
	.globl	_Z19atomic_reduction_v2PiS_i
	.p2align	8
	.type	_Z19atomic_reduction_v2PiS_i,@function
_Z19atomic_reduction_v2PiS_i:           ; @_Z19atomic_reduction_v2PiS_i
; %bb.0:
	s_clause 0x2
	s_load_dword s8, s[4:5], 0x24
	s_load_dword s7, s[4:5], 0x10
	s_load_dwordx4 s[0:3], s[4:5], 0x0
	s_add_u32 s4, s4, 24
	s_addc_u32 s5, s5, 0
	v_mov_b32_e32 v2, 0
	s_waitcnt lgkmcnt(0)
	s_and_b32 s8, s8, 0xffff
	s_mul_i32 s6, s6, s8
	v_add_lshl_u32 v0, s6, v0, 1
	s_mov_b32 s6, exec_lo
	v_cmpx_gt_i32_e64 s7, v0
	s_cbranch_execz .LBB1_4
; %bb.1:
	s_load_dword s4, s[4:5], 0x0
	v_mov_b32_e32 v2, 0
	s_waitcnt lgkmcnt(0)
	s_mul_i32 s4, s4, s8
	s_lshl_b32 s5, s4, 1
	s_mov_b32 s4, 0
.LBB1_2:                                ; =>This Inner Loop Header: Depth=1
	v_ashrrev_i32_e32 v1, 31, v0
	v_lshlrev_b64 v[3:4], 2, v[0:1]
	v_add_nc_u32_e32 v0, s5, v0
	v_add_co_u32 v3, vcc_lo, s0, v3
	v_add_co_ci_u32_e64 v4, null, s1, v4, vcc_lo
	v_cmp_le_i32_e32 vcc_lo, s7, v0
	global_load_dwordx2 v[3:4], v[3:4], off
	s_or_b32 s4, vcc_lo, s4
	s_waitcnt vmcnt(0)
	v_add3_u32 v2, v3, v2, v4
	s_andn2_b32 exec_lo, exec_lo, s4
	s_cbranch_execnz .LBB1_2
; %bb.3:
	s_or_b32 exec_lo, exec_lo, s4
.LBB1_4:
	s_or_b32 exec_lo, exec_lo, s6
	s_mov_b32 s1, exec_lo
	s_mov_b32 s0, 0
.LBB1_5:                                ; =>This Inner Loop Header: Depth=1
	s_ff1_i32_b32 s4, s1
	v_readlane_b32 s5, v2, s4
	s_lshl_b32 s4, 1, s4
	s_andn2_b32 s1, s1, s4
	s_add_i32 s0, s0, s5
	s_cmp_lg_u32 s1, 0
	s_cbranch_scc1 .LBB1_5
; %bb.6:
	v_mbcnt_lo_u32_b32 v0, exec_lo, 0
	s_mov_b32 s1, exec_lo
	v_cmpx_eq_u32_e32 0, v0
	s_xor_b32 s1, exec_lo, s1
	s_cbranch_execz .LBB1_8
; %bb.7:
	v_mov_b32_e32 v0, 0
	v_mov_b32_e32 v1, s0
	global_atomic_add v0, v1, s[2:3]
.LBB1_8:
	s_endpgm
	.section	.rodata,"a",@progbits
	.p2align	6, 0x0
	.amdhsa_kernel _Z19atomic_reduction_v2PiS_i
		.amdhsa_group_segment_fixed_size 0
		.amdhsa_private_segment_fixed_size 0
		.amdhsa_kernarg_size 280
		.amdhsa_user_sgpr_count 6
		.amdhsa_user_sgpr_private_segment_buffer 1
		.amdhsa_user_sgpr_dispatch_ptr 0
		.amdhsa_user_sgpr_queue_ptr 0
		.amdhsa_user_sgpr_kernarg_segment_ptr 1
		.amdhsa_user_sgpr_dispatch_id 0
		.amdhsa_user_sgpr_flat_scratch_init 0
		.amdhsa_user_sgpr_private_segment_size 0
		.amdhsa_wavefront_size32 1
		.amdhsa_uses_dynamic_stack 0
		.amdhsa_system_sgpr_private_segment_wavefront_offset 0
		.amdhsa_system_sgpr_workgroup_id_x 1
		.amdhsa_system_sgpr_workgroup_id_y 0
		.amdhsa_system_sgpr_workgroup_id_z 0
		.amdhsa_system_sgpr_workgroup_info 0
		.amdhsa_system_vgpr_workitem_id 0
		.amdhsa_next_free_vgpr 5
		.amdhsa_next_free_sgpr 9
		.amdhsa_reserve_vcc 1
		.amdhsa_reserve_flat_scratch 0
		.amdhsa_float_round_mode_32 0
		.amdhsa_float_round_mode_16_64 0
		.amdhsa_float_denorm_mode_32 3
		.amdhsa_float_denorm_mode_16_64 3
		.amdhsa_dx10_clamp 1
		.amdhsa_ieee_mode 1
		.amdhsa_fp16_overflow 0
		.amdhsa_workgroup_processor_mode 1
		.amdhsa_memory_ordered 1
		.amdhsa_forward_progress 1
		.amdhsa_shared_vgpr_count 0
		.amdhsa_exception_fp_ieee_invalid_op 0
		.amdhsa_exception_fp_denorm_src 0
		.amdhsa_exception_fp_ieee_div_zero 0
		.amdhsa_exception_fp_ieee_overflow 0
		.amdhsa_exception_fp_ieee_underflow 0
		.amdhsa_exception_fp_ieee_inexact 0
		.amdhsa_exception_int_div_zero 0
	.end_amdhsa_kernel
	.text
.Lfunc_end1:
	.size	_Z19atomic_reduction_v2PiS_i, .Lfunc_end1-_Z19atomic_reduction_v2PiS_i
                                        ; -- End function
	.set _Z19atomic_reduction_v2PiS_i.num_vgpr, 5
	.set _Z19atomic_reduction_v2PiS_i.num_agpr, 0
	.set _Z19atomic_reduction_v2PiS_i.numbered_sgpr, 9
	.set _Z19atomic_reduction_v2PiS_i.num_named_barrier, 0
	.set _Z19atomic_reduction_v2PiS_i.private_seg_size, 0
	.set _Z19atomic_reduction_v2PiS_i.uses_vcc, 1
	.set _Z19atomic_reduction_v2PiS_i.uses_flat_scratch, 0
	.set _Z19atomic_reduction_v2PiS_i.has_dyn_sized_stack, 0
	.set _Z19atomic_reduction_v2PiS_i.has_recursion, 0
	.set _Z19atomic_reduction_v2PiS_i.has_indirect_call, 0
	.section	.AMDGPU.csdata,"",@progbits
; Kernel info:
; codeLenInByte = 268
; TotalNumSgprs: 11
; NumVgprs: 5
; ScratchSize: 0
; MemoryBound: 0
; FloatMode: 240
; IeeeMode: 1
; LDSByteSize: 0 bytes/workgroup (compile time only)
; SGPRBlocks: 0
; VGPRBlocks: 0
; NumSGPRsForWavesPerEU: 11
; NumVGPRsForWavesPerEU: 5
; Occupancy: 16
; WaveLimiterHint : 0
; COMPUTE_PGM_RSRC2:SCRATCH_EN: 0
; COMPUTE_PGM_RSRC2:USER_SGPR: 6
; COMPUTE_PGM_RSRC2:TRAP_HANDLER: 0
; COMPUTE_PGM_RSRC2:TGID_X_EN: 1
; COMPUTE_PGM_RSRC2:TGID_Y_EN: 0
; COMPUTE_PGM_RSRC2:TGID_Z_EN: 0
; COMPUTE_PGM_RSRC2:TIDIG_COMP_CNT: 0
	.text
	.protected	_Z19atomic_reduction_v4PiS_i ; -- Begin function _Z19atomic_reduction_v4PiS_i
	.globl	_Z19atomic_reduction_v4PiS_i
	.p2align	8
	.type	_Z19atomic_reduction_v4PiS_i,@function
_Z19atomic_reduction_v4PiS_i:           ; @_Z19atomic_reduction_v4PiS_i
; %bb.0:
	s_clause 0x2
	s_load_dword s8, s[4:5], 0x24
	s_load_dword s7, s[4:5], 0x10
	s_load_dwordx4 s[0:3], s[4:5], 0x0
	s_add_u32 s4, s4, 24
	s_addc_u32 s5, s5, 0
	v_mov_b32_e32 v2, 0
	s_waitcnt lgkmcnt(0)
	s_and_b32 s8, s8, 0xffff
	s_mul_i32 s6, s6, s8
	v_add_lshl_u32 v0, s6, v0, 2
	s_mov_b32 s6, exec_lo
	v_cmpx_gt_i32_e64 s7, v0
	s_cbranch_execz .LBB2_4
; %bb.1:
	s_load_dword s4, s[4:5], 0x0
	v_mov_b32_e32 v2, 0
	s_waitcnt lgkmcnt(0)
	s_mul_i32 s4, s4, s8
	s_lshl_b32 s5, s4, 2
	s_mov_b32 s4, 0
	.p2align	6
.LBB2_2:                                ; =>This Inner Loop Header: Depth=1
	v_ashrrev_i32_e32 v1, 31, v0
	v_lshlrev_b64 v[3:4], 2, v[0:1]
	v_add_nc_u32_e32 v0, s5, v0
	v_add_co_u32 v3, vcc_lo, s0, v3
	v_add_co_ci_u32_e64 v4, null, s1, v4, vcc_lo
	v_cmp_le_i32_e32 vcc_lo, s7, v0
	global_load_dwordx4 v[3:6], v[3:4], off
	s_or_b32 s4, vcc_lo, s4
	s_waitcnt vmcnt(0)
	v_add3_u32 v1, v3, v2, v4
	v_add3_u32 v2, v1, v5, v6
	s_andn2_b32 exec_lo, exec_lo, s4
	s_cbranch_execnz .LBB2_2
; %bb.3:
	s_or_b32 exec_lo, exec_lo, s4
.LBB2_4:
	s_or_b32 exec_lo, exec_lo, s6
	s_mov_b32 s1, exec_lo
	s_mov_b32 s0, 0
.LBB2_5:                                ; =>This Inner Loop Header: Depth=1
	s_ff1_i32_b32 s4, s1
	v_readlane_b32 s5, v2, s4
	s_lshl_b32 s4, 1, s4
	s_andn2_b32 s1, s1, s4
	s_add_i32 s0, s0, s5
	s_cmp_lg_u32 s1, 0
	s_cbranch_scc1 .LBB2_5
; %bb.6:
	v_mbcnt_lo_u32_b32 v0, exec_lo, 0
	s_mov_b32 s1, exec_lo
	v_cmpx_eq_u32_e32 0, v0
	s_xor_b32 s1, exec_lo, s1
	s_cbranch_execz .LBB2_8
; %bb.7:
	v_mov_b32_e32 v0, 0
	v_mov_b32_e32 v1, s0
	global_atomic_add v0, v1, s[2:3]
.LBB2_8:
	s_endpgm
	.section	.rodata,"a",@progbits
	.p2align	6, 0x0
	.amdhsa_kernel _Z19atomic_reduction_v4PiS_i
		.amdhsa_group_segment_fixed_size 0
		.amdhsa_private_segment_fixed_size 0
		.amdhsa_kernarg_size 280
		.amdhsa_user_sgpr_count 6
		.amdhsa_user_sgpr_private_segment_buffer 1
		.amdhsa_user_sgpr_dispatch_ptr 0
		.amdhsa_user_sgpr_queue_ptr 0
		.amdhsa_user_sgpr_kernarg_segment_ptr 1
		.amdhsa_user_sgpr_dispatch_id 0
		.amdhsa_user_sgpr_flat_scratch_init 0
		.amdhsa_user_sgpr_private_segment_size 0
		.amdhsa_wavefront_size32 1
		.amdhsa_uses_dynamic_stack 0
		.amdhsa_system_sgpr_private_segment_wavefront_offset 0
		.amdhsa_system_sgpr_workgroup_id_x 1
		.amdhsa_system_sgpr_workgroup_id_y 0
		.amdhsa_system_sgpr_workgroup_id_z 0
		.amdhsa_system_sgpr_workgroup_info 0
		.amdhsa_system_vgpr_workitem_id 0
		.amdhsa_next_free_vgpr 7
		.amdhsa_next_free_sgpr 9
		.amdhsa_reserve_vcc 1
		.amdhsa_reserve_flat_scratch 0
		.amdhsa_float_round_mode_32 0
		.amdhsa_float_round_mode_16_64 0
		.amdhsa_float_denorm_mode_32 3
		.amdhsa_float_denorm_mode_16_64 3
		.amdhsa_dx10_clamp 1
		.amdhsa_ieee_mode 1
		.amdhsa_fp16_overflow 0
		.amdhsa_workgroup_processor_mode 1
		.amdhsa_memory_ordered 1
		.amdhsa_forward_progress 1
		.amdhsa_shared_vgpr_count 0
		.amdhsa_exception_fp_ieee_invalid_op 0
		.amdhsa_exception_fp_denorm_src 0
		.amdhsa_exception_fp_ieee_div_zero 0
		.amdhsa_exception_fp_ieee_overflow 0
		.amdhsa_exception_fp_ieee_underflow 0
		.amdhsa_exception_fp_ieee_inexact 0
		.amdhsa_exception_int_div_zero 0
	.end_amdhsa_kernel
	.text
.Lfunc_end2:
	.size	_Z19atomic_reduction_v4PiS_i, .Lfunc_end2-_Z19atomic_reduction_v4PiS_i
                                        ; -- End function
	.set _Z19atomic_reduction_v4PiS_i.num_vgpr, 7
	.set _Z19atomic_reduction_v4PiS_i.num_agpr, 0
	.set _Z19atomic_reduction_v4PiS_i.numbered_sgpr, 9
	.set _Z19atomic_reduction_v4PiS_i.num_named_barrier, 0
	.set _Z19atomic_reduction_v4PiS_i.private_seg_size, 0
	.set _Z19atomic_reduction_v4PiS_i.uses_vcc, 1
	.set _Z19atomic_reduction_v4PiS_i.uses_flat_scratch, 0
	.set _Z19atomic_reduction_v4PiS_i.has_dyn_sized_stack, 0
	.set _Z19atomic_reduction_v4PiS_i.has_recursion, 0
	.set _Z19atomic_reduction_v4PiS_i.has_indirect_call, 0
	.section	.AMDGPU.csdata,"",@progbits
; Kernel info:
; codeLenInByte = 296
; TotalNumSgprs: 11
; NumVgprs: 7
; ScratchSize: 0
; MemoryBound: 0
; FloatMode: 240
; IeeeMode: 1
; LDSByteSize: 0 bytes/workgroup (compile time only)
; SGPRBlocks: 0
; VGPRBlocks: 0
; NumSGPRsForWavesPerEU: 11
; NumVGPRsForWavesPerEU: 7
; Occupancy: 16
; WaveLimiterHint : 0
; COMPUTE_PGM_RSRC2:SCRATCH_EN: 0
; COMPUTE_PGM_RSRC2:USER_SGPR: 6
; COMPUTE_PGM_RSRC2:TRAP_HANDLER: 0
; COMPUTE_PGM_RSRC2:TGID_X_EN: 1
; COMPUTE_PGM_RSRC2:TGID_Y_EN: 0
; COMPUTE_PGM_RSRC2:TGID_Z_EN: 0
; COMPUTE_PGM_RSRC2:TIDIG_COMP_CNT: 0
	.text
	.protected	_Z19atomic_reduction_v8PiS_i ; -- Begin function _Z19atomic_reduction_v8PiS_i
	.globl	_Z19atomic_reduction_v8PiS_i
	.p2align	8
	.type	_Z19atomic_reduction_v8PiS_i,@function
_Z19atomic_reduction_v8PiS_i:           ; @_Z19atomic_reduction_v8PiS_i
; %bb.0:
	s_clause 0x2
	s_load_dword s8, s[4:5], 0x24
	s_load_dword s7, s[4:5], 0x10
	s_load_dwordx4 s[0:3], s[4:5], 0x0
	s_add_u32 s4, s4, 24
	s_addc_u32 s5, s5, 0
	v_mov_b32_e32 v2, 0
	s_waitcnt lgkmcnt(0)
	s_and_b32 s8, s8, 0xffff
	s_mul_i32 s6, s6, s8
	v_add_lshl_u32 v0, s6, v0, 3
	s_mov_b32 s6, exec_lo
	v_cmpx_gt_i32_e64 s7, v0
	s_cbranch_execz .LBB3_4
; %bb.1:
	s_load_dword s4, s[4:5], 0x0
	v_mov_b32_e32 v2, 0
	s_waitcnt lgkmcnt(0)
	s_mul_i32 s4, s4, s8
	s_lshl_b32 s5, s4, 3
	s_mov_b32 s4, 0
	.p2align	6
.LBB3_2:                                ; =>This Inner Loop Header: Depth=1
	v_ashrrev_i32_e32 v1, 31, v0
	v_lshlrev_b64 v[3:4], 2, v[0:1]
	v_add_nc_u32_e32 v0, s5, v0
	v_add_co_u32 v7, vcc_lo, s0, v3
	v_add_co_ci_u32_e64 v8, null, s1, v4, vcc_lo
	v_cmp_le_i32_e32 vcc_lo, s7, v0
	s_clause 0x1
	global_load_dwordx4 v[3:6], v[7:8], off
	global_load_dwordx4 v[7:10], v[7:8], off offset:16
	s_or_b32 s4, vcc_lo, s4
	s_waitcnt vmcnt(1)
	v_add3_u32 v1, v3, v2, v4
	v_add3_u32 v1, v1, v5, v6
	s_waitcnt vmcnt(0)
	v_add3_u32 v1, v1, v7, v8
	v_add3_u32 v2, v1, v9, v10
	s_andn2_b32 exec_lo, exec_lo, s4
	s_cbranch_execnz .LBB3_2
; %bb.3:
	s_or_b32 exec_lo, exec_lo, s4
.LBB3_4:
	s_or_b32 exec_lo, exec_lo, s6
	s_mov_b32 s1, exec_lo
	s_mov_b32 s0, 0
.LBB3_5:                                ; =>This Inner Loop Header: Depth=1
	s_ff1_i32_b32 s4, s1
	v_readlane_b32 s5, v2, s4
	s_lshl_b32 s4, 1, s4
	s_andn2_b32 s1, s1, s4
	s_add_i32 s0, s0, s5
	s_cmp_lg_u32 s1, 0
	s_cbranch_scc1 .LBB3_5
; %bb.6:
	v_mbcnt_lo_u32_b32 v0, exec_lo, 0
	s_mov_b32 s1, exec_lo
	v_cmpx_eq_u32_e32 0, v0
	s_xor_b32 s1, exec_lo, s1
	s_cbranch_execz .LBB3_8
; %bb.7:
	v_mov_b32_e32 v0, 0
	v_mov_b32_e32 v1, s0
	global_atomic_add v0, v1, s[2:3]
.LBB3_8:
	s_endpgm
	.section	.rodata,"a",@progbits
	.p2align	6, 0x0
	.amdhsa_kernel _Z19atomic_reduction_v8PiS_i
		.amdhsa_group_segment_fixed_size 0
		.amdhsa_private_segment_fixed_size 0
		.amdhsa_kernarg_size 280
		.amdhsa_user_sgpr_count 6
		.amdhsa_user_sgpr_private_segment_buffer 1
		.amdhsa_user_sgpr_dispatch_ptr 0
		.amdhsa_user_sgpr_queue_ptr 0
		.amdhsa_user_sgpr_kernarg_segment_ptr 1
		.amdhsa_user_sgpr_dispatch_id 0
		.amdhsa_user_sgpr_flat_scratch_init 0
		.amdhsa_user_sgpr_private_segment_size 0
		.amdhsa_wavefront_size32 1
		.amdhsa_uses_dynamic_stack 0
		.amdhsa_system_sgpr_private_segment_wavefront_offset 0
		.amdhsa_system_sgpr_workgroup_id_x 1
		.amdhsa_system_sgpr_workgroup_id_y 0
		.amdhsa_system_sgpr_workgroup_id_z 0
		.amdhsa_system_sgpr_workgroup_info 0
		.amdhsa_system_vgpr_workitem_id 0
		.amdhsa_next_free_vgpr 11
		.amdhsa_next_free_sgpr 9
		.amdhsa_reserve_vcc 1
		.amdhsa_reserve_flat_scratch 0
		.amdhsa_float_round_mode_32 0
		.amdhsa_float_round_mode_16_64 0
		.amdhsa_float_denorm_mode_32 3
		.amdhsa_float_denorm_mode_16_64 3
		.amdhsa_dx10_clamp 1
		.amdhsa_ieee_mode 1
		.amdhsa_fp16_overflow 0
		.amdhsa_workgroup_processor_mode 1
		.amdhsa_memory_ordered 1
		.amdhsa_forward_progress 1
		.amdhsa_shared_vgpr_count 0
		.amdhsa_exception_fp_ieee_invalid_op 0
		.amdhsa_exception_fp_denorm_src 0
		.amdhsa_exception_fp_ieee_div_zero 0
		.amdhsa_exception_fp_ieee_overflow 0
		.amdhsa_exception_fp_ieee_underflow 0
		.amdhsa_exception_fp_ieee_inexact 0
		.amdhsa_exception_int_div_zero 0
	.end_amdhsa_kernel
	.text
.Lfunc_end3:
	.size	_Z19atomic_reduction_v8PiS_i, .Lfunc_end3-_Z19atomic_reduction_v8PiS_i
                                        ; -- End function
	.set _Z19atomic_reduction_v8PiS_i.num_vgpr, 11
	.set _Z19atomic_reduction_v8PiS_i.num_agpr, 0
	.set _Z19atomic_reduction_v8PiS_i.numbered_sgpr, 9
	.set _Z19atomic_reduction_v8PiS_i.num_named_barrier, 0
	.set _Z19atomic_reduction_v8PiS_i.private_seg_size, 0
	.set _Z19atomic_reduction_v8PiS_i.uses_vcc, 1
	.set _Z19atomic_reduction_v8PiS_i.uses_flat_scratch, 0
	.set _Z19atomic_reduction_v8PiS_i.has_dyn_sized_stack, 0
	.set _Z19atomic_reduction_v8PiS_i.has_recursion, 0
	.set _Z19atomic_reduction_v8PiS_i.has_indirect_call, 0
	.section	.AMDGPU.csdata,"",@progbits
; Kernel info:
; codeLenInByte = 328
; TotalNumSgprs: 11
; NumVgprs: 11
; ScratchSize: 0
; MemoryBound: 0
; FloatMode: 240
; IeeeMode: 1
; LDSByteSize: 0 bytes/workgroup (compile time only)
; SGPRBlocks: 0
; VGPRBlocks: 1
; NumSGPRsForWavesPerEU: 11
; NumVGPRsForWavesPerEU: 11
; Occupancy: 16
; WaveLimiterHint : 0
; COMPUTE_PGM_RSRC2:SCRATCH_EN: 0
; COMPUTE_PGM_RSRC2:USER_SGPR: 6
; COMPUTE_PGM_RSRC2:TRAP_HANDLER: 0
; COMPUTE_PGM_RSRC2:TGID_X_EN: 1
; COMPUTE_PGM_RSRC2:TGID_Y_EN: 0
; COMPUTE_PGM_RSRC2:TGID_Z_EN: 0
; COMPUTE_PGM_RSRC2:TIDIG_COMP_CNT: 0
	.text
	.protected	_Z20atomic_reduction_v16PiS_i ; -- Begin function _Z20atomic_reduction_v16PiS_i
	.globl	_Z20atomic_reduction_v16PiS_i
	.p2align	8
	.type	_Z20atomic_reduction_v16PiS_i,@function
_Z20atomic_reduction_v16PiS_i:          ; @_Z20atomic_reduction_v16PiS_i
; %bb.0:
	s_clause 0x2
	s_load_dword s8, s[4:5], 0x24
	s_load_dword s7, s[4:5], 0x10
	s_load_dwordx4 s[0:3], s[4:5], 0x0
	s_add_u32 s4, s4, 24
	s_addc_u32 s5, s5, 0
	v_mov_b32_e32 v2, 0
	s_waitcnt lgkmcnt(0)
	s_and_b32 s8, s8, 0xffff
	s_mul_i32 s6, s6, s8
	v_add_lshl_u32 v0, s6, v0, 4
	s_mov_b32 s6, exec_lo
	v_cmpx_gt_i32_e64 s7, v0
	s_cbranch_execz .LBB4_4
; %bb.1:
	s_load_dword s4, s[4:5], 0x0
	v_mov_b32_e32 v2, 0
	s_waitcnt lgkmcnt(0)
	s_mul_i32 s4, s4, s8
	s_lshl_b32 s5, s4, 4
	s_mov_b32 s4, 0
	s_inst_prefetch 0x1
	.p2align	6
.LBB4_2:                                ; =>This Inner Loop Header: Depth=1
	v_ashrrev_i32_e32 v1, 31, v0
	v_lshlrev_b64 v[3:4], 2, v[0:1]
	v_add_nc_u32_e32 v0, s5, v0
	v_add_co_u32 v15, vcc_lo, s0, v3
	v_add_co_ci_u32_e64 v16, null, s1, v4, vcc_lo
	v_cmp_le_i32_e32 vcc_lo, s7, v0
	s_clause 0x3
	global_load_dwordx4 v[3:6], v[15:16], off
	global_load_dwordx4 v[7:10], v[15:16], off offset:16
	global_load_dwordx4 v[11:14], v[15:16], off offset:32
	;; [unrolled: 1-line block ×3, first 2 shown]
	s_or_b32 s4, vcc_lo, s4
	s_waitcnt vmcnt(3)
	v_add3_u32 v1, v3, v2, v4
	v_add3_u32 v1, v1, v5, v6
	s_waitcnt vmcnt(2)
	v_add3_u32 v1, v1, v7, v8
	v_add3_u32 v1, v1, v9, v10
	;; [unrolled: 3-line block ×4, first 2 shown]
	s_andn2_b32 exec_lo, exec_lo, s4
	s_cbranch_execnz .LBB4_2
; %bb.3:
	s_inst_prefetch 0x2
	s_or_b32 exec_lo, exec_lo, s4
.LBB4_4:
	s_or_b32 exec_lo, exec_lo, s6
	s_mov_b32 s1, exec_lo
	s_mov_b32 s0, 0
.LBB4_5:                                ; =>This Inner Loop Header: Depth=1
	s_ff1_i32_b32 s4, s1
	v_readlane_b32 s5, v2, s4
	s_lshl_b32 s4, 1, s4
	s_andn2_b32 s1, s1, s4
	s_add_i32 s0, s0, s5
	s_cmp_lg_u32 s1, 0
	s_cbranch_scc1 .LBB4_5
; %bb.6:
	v_mbcnt_lo_u32_b32 v0, exec_lo, 0
	s_mov_b32 s1, exec_lo
	v_cmpx_eq_u32_e32 0, v0
	s_xor_b32 s1, exec_lo, s1
	s_cbranch_execz .LBB4_8
; %bb.7:
	v_mov_b32_e32 v0, 0
	v_mov_b32_e32 v1, s0
	global_atomic_add v0, v1, s[2:3]
.LBB4_8:
	s_endpgm
	.section	.rodata,"a",@progbits
	.p2align	6, 0x0
	.amdhsa_kernel _Z20atomic_reduction_v16PiS_i
		.amdhsa_group_segment_fixed_size 0
		.amdhsa_private_segment_fixed_size 0
		.amdhsa_kernarg_size 280
		.amdhsa_user_sgpr_count 6
		.amdhsa_user_sgpr_private_segment_buffer 1
		.amdhsa_user_sgpr_dispatch_ptr 0
		.amdhsa_user_sgpr_queue_ptr 0
		.amdhsa_user_sgpr_kernarg_segment_ptr 1
		.amdhsa_user_sgpr_dispatch_id 0
		.amdhsa_user_sgpr_flat_scratch_init 0
		.amdhsa_user_sgpr_private_segment_size 0
		.amdhsa_wavefront_size32 1
		.amdhsa_uses_dynamic_stack 0
		.amdhsa_system_sgpr_private_segment_wavefront_offset 0
		.amdhsa_system_sgpr_workgroup_id_x 1
		.amdhsa_system_sgpr_workgroup_id_y 0
		.amdhsa_system_sgpr_workgroup_id_z 0
		.amdhsa_system_sgpr_workgroup_info 0
		.amdhsa_system_vgpr_workitem_id 0
		.amdhsa_next_free_vgpr 19
		.amdhsa_next_free_sgpr 9
		.amdhsa_reserve_vcc 1
		.amdhsa_reserve_flat_scratch 0
		.amdhsa_float_round_mode_32 0
		.amdhsa_float_round_mode_16_64 0
		.amdhsa_float_denorm_mode_32 3
		.amdhsa_float_denorm_mode_16_64 3
		.amdhsa_dx10_clamp 1
		.amdhsa_ieee_mode 1
		.amdhsa_fp16_overflow 0
		.amdhsa_workgroup_processor_mode 1
		.amdhsa_memory_ordered 1
		.amdhsa_forward_progress 1
		.amdhsa_shared_vgpr_count 0
		.amdhsa_exception_fp_ieee_invalid_op 0
		.amdhsa_exception_fp_denorm_src 0
		.amdhsa_exception_fp_ieee_div_zero 0
		.amdhsa_exception_fp_ieee_overflow 0
		.amdhsa_exception_fp_ieee_underflow 0
		.amdhsa_exception_fp_ieee_inexact 0
		.amdhsa_exception_int_div_zero 0
	.end_amdhsa_kernel
	.text
.Lfunc_end4:
	.size	_Z20atomic_reduction_v16PiS_i, .Lfunc_end4-_Z20atomic_reduction_v16PiS_i
                                        ; -- End function
	.set _Z20atomic_reduction_v16PiS_i.num_vgpr, 19
	.set _Z20atomic_reduction_v16PiS_i.num_agpr, 0
	.set _Z20atomic_reduction_v16PiS_i.numbered_sgpr, 9
	.set _Z20atomic_reduction_v16PiS_i.num_named_barrier, 0
	.set _Z20atomic_reduction_v16PiS_i.private_seg_size, 0
	.set _Z20atomic_reduction_v16PiS_i.uses_vcc, 1
	.set _Z20atomic_reduction_v16PiS_i.uses_flat_scratch, 0
	.set _Z20atomic_reduction_v16PiS_i.has_dyn_sized_stack, 0
	.set _Z20atomic_reduction_v16PiS_i.has_recursion, 0
	.set _Z20atomic_reduction_v16PiS_i.has_indirect_call, 0
	.section	.AMDGPU.csdata,"",@progbits
; Kernel info:
; codeLenInByte = 388
; TotalNumSgprs: 11
; NumVgprs: 19
; ScratchSize: 0
; MemoryBound: 0
; FloatMode: 240
; IeeeMode: 1
; LDSByteSize: 0 bytes/workgroup (compile time only)
; SGPRBlocks: 0
; VGPRBlocks: 2
; NumSGPRsForWavesPerEU: 11
; NumVGPRsForWavesPerEU: 19
; Occupancy: 16
; WaveLimiterHint : 0
; COMPUTE_PGM_RSRC2:SCRATCH_EN: 0
; COMPUTE_PGM_RSRC2:USER_SGPR: 6
; COMPUTE_PGM_RSRC2:TRAP_HANDLER: 0
; COMPUTE_PGM_RSRC2:TGID_X_EN: 1
; COMPUTE_PGM_RSRC2:TGID_Y_EN: 0
; COMPUTE_PGM_RSRC2:TGID_Z_EN: 0
; COMPUTE_PGM_RSRC2:TIDIG_COMP_CNT: 0
	.text
	.p2alignl 6, 3214868480
	.fill 48, 4, 3214868480
	.section	.AMDGPU.gpr_maximums,"",@progbits
	.set amdgpu.max_num_vgpr, 0
	.set amdgpu.max_num_agpr, 0
	.set amdgpu.max_num_sgpr, 0
	.text
	.type	__hip_cuid_c28813c5bd2fc724,@object ; @__hip_cuid_c28813c5bd2fc724
	.section	.bss,"aw",@nobits
	.globl	__hip_cuid_c28813c5bd2fc724
__hip_cuid_c28813c5bd2fc724:
	.byte	0                               ; 0x0
	.size	__hip_cuid_c28813c5bd2fc724, 1

	.ident	"AMD clang version 22.0.0git (https://github.com/RadeonOpenCompute/llvm-project roc-7.2.4 26084 f58b06dce1f9c15707c5f808fd002e18c2accf7e)"
	.section	".note.GNU-stack","",@progbits
	.addrsig
	.addrsig_sym __hip_cuid_c28813c5bd2fc724
	.amdgpu_metadata
---
amdhsa.kernels:
  - .args:
      - .address_space:  global
        .offset:         0
        .size:           8
        .value_kind:     global_buffer
      - .address_space:  global
        .offset:         8
        .size:           8
        .value_kind:     global_buffer
      - .offset:         16
        .size:           4
        .value_kind:     by_value
      - .offset:         24
        .size:           4
        .value_kind:     hidden_block_count_x
      - .offset:         28
        .size:           4
        .value_kind:     hidden_block_count_y
      - .offset:         32
        .size:           4
        .value_kind:     hidden_block_count_z
      - .offset:         36
        .size:           2
        .value_kind:     hidden_group_size_x
      - .offset:         38
        .size:           2
        .value_kind:     hidden_group_size_y
      - .offset:         40
        .size:           2
        .value_kind:     hidden_group_size_z
      - .offset:         42
        .size:           2
        .value_kind:     hidden_remainder_x
      - .offset:         44
        .size:           2
        .value_kind:     hidden_remainder_y
      - .offset:         46
        .size:           2
        .value_kind:     hidden_remainder_z
      - .offset:         64
        .size:           8
        .value_kind:     hidden_global_offset_x
      - .offset:         72
        .size:           8
        .value_kind:     hidden_global_offset_y
      - .offset:         80
        .size:           8
        .value_kind:     hidden_global_offset_z
      - .offset:         88
        .size:           2
        .value_kind:     hidden_grid_dims
    .group_segment_fixed_size: 0
    .kernarg_segment_align: 8
    .kernarg_segment_size: 280
    .language:       OpenCL C
    .language_version:
      - 2
      - 0
    .max_flat_workgroup_size: 1024
    .name:           _Z16atomic_reductionPiS_i
    .private_segment_fixed_size: 0
    .sgpr_count:     11
    .sgpr_spill_count: 0
    .symbol:         _Z16atomic_reductionPiS_i.kd
    .uniform_work_group_size: 1
    .uses_dynamic_stack: false
    .vgpr_count:     5
    .vgpr_spill_count: 0
    .wavefront_size: 32
    .workgroup_processor_mode: 1
  - .args:
      - .address_space:  global
        .offset:         0
        .size:           8
        .value_kind:     global_buffer
      - .address_space:  global
        .offset:         8
        .size:           8
        .value_kind:     global_buffer
      - .offset:         16
        .size:           4
        .value_kind:     by_value
      - .offset:         24
        .size:           4
        .value_kind:     hidden_block_count_x
      - .offset:         28
        .size:           4
        .value_kind:     hidden_block_count_y
      - .offset:         32
        .size:           4
        .value_kind:     hidden_block_count_z
      - .offset:         36
        .size:           2
        .value_kind:     hidden_group_size_x
      - .offset:         38
        .size:           2
        .value_kind:     hidden_group_size_y
      - .offset:         40
        .size:           2
        .value_kind:     hidden_group_size_z
      - .offset:         42
        .size:           2
        .value_kind:     hidden_remainder_x
      - .offset:         44
        .size:           2
        .value_kind:     hidden_remainder_y
      - .offset:         46
        .size:           2
        .value_kind:     hidden_remainder_z
      - .offset:         64
        .size:           8
        .value_kind:     hidden_global_offset_x
      - .offset:         72
        .size:           8
        .value_kind:     hidden_global_offset_y
      - .offset:         80
        .size:           8
        .value_kind:     hidden_global_offset_z
      - .offset:         88
        .size:           2
        .value_kind:     hidden_grid_dims
    .group_segment_fixed_size: 0
    .kernarg_segment_align: 8
    .kernarg_segment_size: 280
    .language:       OpenCL C
    .language_version:
      - 2
      - 0
    .max_flat_workgroup_size: 1024
    .name:           _Z19atomic_reduction_v2PiS_i
    .private_segment_fixed_size: 0
    .sgpr_count:     11
    .sgpr_spill_count: 0
    .symbol:         _Z19atomic_reduction_v2PiS_i.kd
    .uniform_work_group_size: 1
    .uses_dynamic_stack: false
    .vgpr_count:     5
    .vgpr_spill_count: 0
    .wavefront_size: 32
    .workgroup_processor_mode: 1
  - .args:
      - .address_space:  global
        .offset:         0
        .size:           8
        .value_kind:     global_buffer
      - .address_space:  global
        .offset:         8
        .size:           8
        .value_kind:     global_buffer
      - .offset:         16
        .size:           4
        .value_kind:     by_value
      - .offset:         24
        .size:           4
        .value_kind:     hidden_block_count_x
      - .offset:         28
        .size:           4
        .value_kind:     hidden_block_count_y
      - .offset:         32
        .size:           4
        .value_kind:     hidden_block_count_z
      - .offset:         36
        .size:           2
        .value_kind:     hidden_group_size_x
      - .offset:         38
        .size:           2
        .value_kind:     hidden_group_size_y
      - .offset:         40
        .size:           2
        .value_kind:     hidden_group_size_z
      - .offset:         42
        .size:           2
        .value_kind:     hidden_remainder_x
      - .offset:         44
        .size:           2
        .value_kind:     hidden_remainder_y
      - .offset:         46
        .size:           2
        .value_kind:     hidden_remainder_z
      - .offset:         64
        .size:           8
        .value_kind:     hidden_global_offset_x
      - .offset:         72
        .size:           8
        .value_kind:     hidden_global_offset_y
      - .offset:         80
        .size:           8
        .value_kind:     hidden_global_offset_z
      - .offset:         88
        .size:           2
        .value_kind:     hidden_grid_dims
    .group_segment_fixed_size: 0
    .kernarg_segment_align: 8
    .kernarg_segment_size: 280
    .language:       OpenCL C
    .language_version:
      - 2
      - 0
    .max_flat_workgroup_size: 1024
    .name:           _Z19atomic_reduction_v4PiS_i
    .private_segment_fixed_size: 0
    .sgpr_count:     11
    .sgpr_spill_count: 0
    .symbol:         _Z19atomic_reduction_v4PiS_i.kd
    .uniform_work_group_size: 1
    .uses_dynamic_stack: false
    .vgpr_count:     7
    .vgpr_spill_count: 0
    .wavefront_size: 32
    .workgroup_processor_mode: 1
  - .args:
      - .address_space:  global
        .offset:         0
        .size:           8
        .value_kind:     global_buffer
      - .address_space:  global
        .offset:         8
        .size:           8
        .value_kind:     global_buffer
      - .offset:         16
        .size:           4
        .value_kind:     by_value
      - .offset:         24
        .size:           4
        .value_kind:     hidden_block_count_x
      - .offset:         28
        .size:           4
        .value_kind:     hidden_block_count_y
      - .offset:         32
        .size:           4
        .value_kind:     hidden_block_count_z
      - .offset:         36
        .size:           2
        .value_kind:     hidden_group_size_x
      - .offset:         38
        .size:           2
        .value_kind:     hidden_group_size_y
      - .offset:         40
        .size:           2
        .value_kind:     hidden_group_size_z
      - .offset:         42
        .size:           2
        .value_kind:     hidden_remainder_x
      - .offset:         44
        .size:           2
        .value_kind:     hidden_remainder_y
      - .offset:         46
        .size:           2
        .value_kind:     hidden_remainder_z
      - .offset:         64
        .size:           8
        .value_kind:     hidden_global_offset_x
      - .offset:         72
        .size:           8
        .value_kind:     hidden_global_offset_y
      - .offset:         80
        .size:           8
        .value_kind:     hidden_global_offset_z
      - .offset:         88
        .size:           2
        .value_kind:     hidden_grid_dims
    .group_segment_fixed_size: 0
    .kernarg_segment_align: 8
    .kernarg_segment_size: 280
    .language:       OpenCL C
    .language_version:
      - 2
      - 0
    .max_flat_workgroup_size: 1024
    .name:           _Z19atomic_reduction_v8PiS_i
    .private_segment_fixed_size: 0
    .sgpr_count:     11
    .sgpr_spill_count: 0
    .symbol:         _Z19atomic_reduction_v8PiS_i.kd
    .uniform_work_group_size: 1
    .uses_dynamic_stack: false
    .vgpr_count:     11
    .vgpr_spill_count: 0
    .wavefront_size: 32
    .workgroup_processor_mode: 1
  - .args:
      - .address_space:  global
        .offset:         0
        .size:           8
        .value_kind:     global_buffer
      - .address_space:  global
        .offset:         8
        .size:           8
        .value_kind:     global_buffer
      - .offset:         16
        .size:           4
        .value_kind:     by_value
      - .offset:         24
        .size:           4
        .value_kind:     hidden_block_count_x
      - .offset:         28
        .size:           4
        .value_kind:     hidden_block_count_y
      - .offset:         32
        .size:           4
        .value_kind:     hidden_block_count_z
      - .offset:         36
        .size:           2
        .value_kind:     hidden_group_size_x
      - .offset:         38
        .size:           2
        .value_kind:     hidden_group_size_y
      - .offset:         40
        .size:           2
        .value_kind:     hidden_group_size_z
      - .offset:         42
        .size:           2
        .value_kind:     hidden_remainder_x
      - .offset:         44
        .size:           2
        .value_kind:     hidden_remainder_y
      - .offset:         46
        .size:           2
        .value_kind:     hidden_remainder_z
      - .offset:         64
        .size:           8
        .value_kind:     hidden_global_offset_x
      - .offset:         72
        .size:           8
        .value_kind:     hidden_global_offset_y
      - .offset:         80
        .size:           8
        .value_kind:     hidden_global_offset_z
      - .offset:         88
        .size:           2
        .value_kind:     hidden_grid_dims
    .group_segment_fixed_size: 0
    .kernarg_segment_align: 8
    .kernarg_segment_size: 280
    .language:       OpenCL C
    .language_version:
      - 2
      - 0
    .max_flat_workgroup_size: 1024
    .name:           _Z20atomic_reduction_v16PiS_i
    .private_segment_fixed_size: 0
    .sgpr_count:     11
    .sgpr_spill_count: 0
    .symbol:         _Z20atomic_reduction_v16PiS_i.kd
    .uniform_work_group_size: 1
    .uses_dynamic_stack: false
    .vgpr_count:     19
    .vgpr_spill_count: 0
    .wavefront_size: 32
    .workgroup_processor_mode: 1
amdhsa.target:   amdgcn-amd-amdhsa--gfx1030
amdhsa.version:
  - 1
  - 2
...

	.end_amdgpu_metadata
